;; amdgpu-corpus repo=ROCm/rocFFT kind=compiled arch=gfx950 opt=O3
	.text
	.amdgcn_target "amdgcn-amd-amdhsa--gfx950"
	.amdhsa_code_object_version 6
	.protected	fft_rtc_back_len336_factors_6_7_8_wgs_336_tpt_56_sp_ip_CI_sbcc_twdbase6_3step_dirReg ; -- Begin function fft_rtc_back_len336_factors_6_7_8_wgs_336_tpt_56_sp_ip_CI_sbcc_twdbase6_3step_dirReg
	.globl	fft_rtc_back_len336_factors_6_7_8_wgs_336_tpt_56_sp_ip_CI_sbcc_twdbase6_3step_dirReg
	.p2align	8
	.type	fft_rtc_back_len336_factors_6_7_8_wgs_336_tpt_56_sp_ip_CI_sbcc_twdbase6_3step_dirReg,@function
fft_rtc_back_len336_factors_6_7_8_wgs_336_tpt_56_sp_ip_CI_sbcc_twdbase6_3step_dirReg: ; @fft_rtc_back_len336_factors_6_7_8_wgs_336_tpt_56_sp_ip_CI_sbcc_twdbase6_3step_dirReg
; %bb.0:
	s_load_dwordx8 s[4:11], s[0:1], 0x8
	s_movk_i32 s3, 0xc0
	v_cmp_gt_u32_e32 vcc, s3, v0
	s_and_saveexec_b64 s[12:13], vcc
	s_cbranch_execz .LBB0_2
; %bb.1:
	v_lshlrev_b32_e32 v1, 3, v0
	s_waitcnt lgkmcnt(0)
	global_load_dwordx2 v[2:3], v1, s[4:5]
	v_add_u32_e32 v1, 0, v1
	s_waitcnt vmcnt(0)
	ds_write_b64 v1, v[2:3] offset:16128
.LBB0_2:
	s_or_b64 exec, exec, s[12:13]
	s_waitcnt lgkmcnt(0)
	s_load_dwordx2 s[18:19], s[8:9], 0x8
	s_mov_b32 s3, 0
	s_mov_b64 s[24:25], 0
	s_waitcnt lgkmcnt(0)
	s_add_u32 s4, s18, -1
	s_addc_u32 s5, s19, -1
	s_add_u32 s12, 0, 0xaaa80000
	s_addc_u32 s13, 0, 0xaa
	s_mul_hi_u32 s15, s12, -6
	s_add_i32 s13, s13, 0x2aaaaa00
	s_sub_i32 s15, s15, s12
	s_mul_i32 s20, s13, -6
	s_mul_i32 s14, s12, -6
	s_add_i32 s15, s15, s20
	s_mul_hi_u32 s16, s13, s14
	s_mul_i32 s17, s13, s14
	s_mul_i32 s21, s12, s15
	s_mul_hi_u32 s14, s12, s14
	s_mul_hi_u32 s20, s12, s15
	s_add_u32 s14, s14, s21
	s_addc_u32 s20, 0, s20
	s_add_u32 s14, s14, s17
	s_mul_hi_u32 s21, s13, s15
	s_addc_u32 s14, s20, s16
	s_addc_u32 s16, s21, 0
	s_mul_i32 s15, s13, s15
	s_add_u32 s14, s14, s15
	v_mov_b32_e32 v1, s14
	s_addc_u32 s15, 0, s16
	v_add_co_u32_e32 v1, vcc, s12, v1
	s_cmp_lg_u64 vcc, 0
	s_addc_u32 s12, s13, s15
	v_readfirstlane_b32 s15, v1
	s_mul_i32 s14, s4, s12
	s_mul_hi_u32 s16, s4, s15
	s_mul_hi_u32 s13, s4, s12
	s_add_u32 s14, s16, s14
	s_addc_u32 s13, 0, s13
	s_mul_hi_u32 s17, s5, s15
	s_mul_i32 s15, s5, s15
	s_add_u32 s14, s14, s15
	s_mul_hi_u32 s16, s5, s12
	s_addc_u32 s13, s13, s17
	s_addc_u32 s14, s16, 0
	s_mul_i32 s12, s5, s12
	s_add_u32 s12, s13, s12
	s_addc_u32 s13, 0, s14
	s_add_u32 s14, s12, 1
	s_addc_u32 s15, s13, 0
	s_add_u32 s16, s12, 2
	s_mul_i32 s20, s13, 6
	s_mul_hi_u32 s21, s12, 6
	s_addc_u32 s17, s13, 0
	s_add_i32 s21, s21, s20
	s_mul_i32 s20, s12, 6
	v_mov_b32_e32 v1, s20
	v_sub_co_u32_e32 v1, vcc, s4, v1
	s_cmp_lg_u64 vcc, 0
	s_subb_u32 s4, s5, s21
	v_subrev_co_u32_e32 v2, vcc, 6, v1
	s_cmp_lg_u64 vcc, 0
	s_subb_u32 s5, s4, 0
	v_readfirstlane_b32 s20, v2
	s_cmp_gt_u32 s20, 5
	s_cselect_b32 s20, -1, 0
	s_cmp_eq_u32 s5, 0
	s_cselect_b32 s5, s20, -1
	s_cmp_lg_u32 s5, 0
	s_cselect_b32 s5, s16, s14
	s_cselect_b32 s14, s17, s15
	v_readfirstlane_b32 s15, v1
	s_cmp_gt_u32 s15, 5
	s_cselect_b32 s15, -1, 0
	s_cmp_eq_u32 s4, 0
	s_cselect_b32 s4, s15, -1
	s_cmp_lg_u32 s4, 0
	s_cselect_b32 s5, s5, s12
	s_cselect_b32 s4, s14, s13
	s_add_u32 s20, s5, 1
	s_addc_u32 s21, s4, 0
	v_mov_b64_e32 v[2:3], s[20:21]
	v_cmp_lt_u64_e32 vcc, s[2:3], v[2:3]
	s_cbranch_vccnz .LBB0_4
; %bb.3:
	v_cvt_f32_u32_e32 v1, s20
	s_sub_i32 s4, 0, s20
	s_mov_b32 s25, s3
	v_rcp_iflag_f32_e32 v1, v1
	s_nop 0
	v_mul_f32_e32 v1, 0x4f7ffffe, v1
	v_cvt_u32_f32_e32 v1, v1
	s_nop 0
	v_readfirstlane_b32 s5, v1
	s_mul_i32 s4, s4, s5
	s_mul_hi_u32 s4, s5, s4
	s_add_i32 s5, s5, s4
	s_mul_hi_u32 s4, s2, s5
	s_mul_i32 s12, s4, s20
	s_sub_i32 s12, s2, s12
	s_add_i32 s5, s4, 1
	s_sub_i32 s13, s12, s20
	s_cmp_ge_u32 s12, s20
	s_cselect_b32 s4, s5, s4
	s_cselect_b32 s12, s13, s12
	s_add_i32 s5, s4, 1
	s_cmp_ge_u32 s12, s20
	s_cselect_b32 s24, s5, s4
.LBB0_4:
	s_load_dwordx2 s[4:5], s[0:1], 0x58
	s_load_dwordx2 s[16:17], s[0:1], 0x0
	s_load_dwordx4 s[12:15], s[10:11], 0x0
	s_mul_i32 s0, s24, s21
	s_mul_hi_u32 s1, s24, s20
	s_add_i32 s1, s1, s0
	s_mul_i32 s0, s24, s20
	s_sub_u32 s0, s2, s0
	s_subb_u32 s1, 0, s1
	s_mul_i32 s1, s1, 6
	s_mul_hi_u32 s22, s0, 6
	s_add_i32 s23, s22, s1
	s_mul_i32 s22, s0, 6
	s_waitcnt lgkmcnt(0)
	s_mul_i32 s0, s14, s23
	s_mul_hi_u32 s1, s14, s22
	s_add_i32 s0, s1, s0
	s_mul_i32 s1, s15, s22
	s_add_i32 s33, s0, s1
	v_cmp_lt_u64_e64 s[0:1], s[6:7], 3
	s_mul_i32 s38, s14, s22
	s_and_b64 vcc, exec, s[0:1]
	s_cbranch_vccnz .LBB0_14
; %bb.5:
	s_add_u32 s26, s10, 16
	s_addc_u32 s27, s11, 0
	s_add_u32 s8, s8, 16
	s_addc_u32 s9, s9, 0
	s_mov_b64 s[28:29], 2
	s_mov_b32 s30, 0
	v_mov_b64_e32 v[2:3], s[6:7]
.LBB0_6:                                ; =>This Inner Loop Header: Depth=1
	s_load_dwordx2 s[34:35], s[8:9], 0x0
	s_waitcnt lgkmcnt(0)
	s_or_b64 s[0:1], s[24:25], s[34:35]
	s_mov_b32 s31, s1
	s_cmp_lg_u64 s[30:31], 0
	s_cbranch_scc0 .LBB0_11
; %bb.7:                                ;   in Loop: Header=BB0_6 Depth=1
	v_cvt_f32_u32_e32 v1, s34
	v_cvt_f32_u32_e32 v4, s35
	s_sub_u32 s0, 0, s34
	s_subb_u32 s1, 0, s35
	v_fmac_f32_e32 v1, 0x4f800000, v4
	v_rcp_f32_e32 v1, v1
	s_nop 0
	v_mul_f32_e32 v1, 0x5f7ffffc, v1
	v_mul_f32_e32 v4, 0x2f800000, v1
	v_trunc_f32_e32 v4, v4
	v_fmac_f32_e32 v1, 0xcf800000, v4
	v_cvt_u32_f32_e32 v4, v4
	v_cvt_u32_f32_e32 v1, v1
	v_readfirstlane_b32 s31, v4
	v_readfirstlane_b32 s36, v1
	s_mul_i32 s37, s0, s31
	s_mul_hi_u32 s40, s0, s36
	s_mul_i32 s39, s1, s36
	s_add_i32 s37, s40, s37
	s_mul_i32 s41, s0, s36
	s_add_i32 s37, s37, s39
	s_mul_hi_u32 s39, s36, s37
	s_mul_i32 s40, s36, s37
	s_mul_hi_u32 s36, s36, s41
	s_add_u32 s36, s36, s40
	s_addc_u32 s39, 0, s39
	s_mul_hi_u32 s42, s31, s41
	s_mul_i32 s41, s31, s41
	s_add_u32 s36, s36, s41
	s_mul_hi_u32 s40, s31, s37
	s_addc_u32 s36, s39, s42
	s_addc_u32 s39, s40, 0
	s_mul_i32 s37, s31, s37
	s_add_u32 s36, s36, s37
	s_addc_u32 s37, 0, s39
	v_add_co_u32_e32 v1, vcc, s36, v1
	s_cmp_lg_u64 vcc, 0
	s_addc_u32 s31, s31, s37
	v_readfirstlane_b32 s37, v1
	s_mul_i32 s36, s0, s31
	s_mul_hi_u32 s39, s0, s37
	s_add_i32 s36, s39, s36
	s_mul_i32 s1, s1, s37
	s_add_i32 s36, s36, s1
	s_mul_i32 s0, s0, s37
	s_mul_hi_u32 s39, s31, s0
	s_mul_i32 s40, s31, s0
	s_mul_i32 s42, s37, s36
	s_mul_hi_u32 s0, s37, s0
	s_mul_hi_u32 s41, s37, s36
	s_add_u32 s0, s0, s42
	s_addc_u32 s37, 0, s41
	s_add_u32 s0, s0, s40
	s_mul_hi_u32 s1, s31, s36
	s_addc_u32 s0, s37, s39
	s_addc_u32 s1, s1, 0
	s_mul_i32 s36, s31, s36
	s_add_u32 s0, s0, s36
	s_addc_u32 s1, 0, s1
	v_add_co_u32_e32 v1, vcc, s0, v1
	s_cmp_lg_u64 vcc, 0
	s_addc_u32 s0, s31, s1
	v_readfirstlane_b32 s36, v1
	s_mul_i32 s31, s24, s0
	s_mul_hi_u32 s37, s24, s36
	s_mul_hi_u32 s1, s24, s0
	s_add_u32 s31, s37, s31
	s_addc_u32 s1, 0, s1
	s_mul_hi_u32 s39, s25, s36
	s_mul_i32 s36, s25, s36
	s_add_u32 s31, s31, s36
	s_mul_hi_u32 s37, s25, s0
	s_addc_u32 s1, s1, s39
	s_addc_u32 s31, s37, 0
	s_mul_i32 s0, s25, s0
	s_add_u32 s36, s1, s0
	s_addc_u32 s31, 0, s31
	s_mul_i32 s0, s34, s31
	s_mul_hi_u32 s1, s34, s36
	s_add_i32 s0, s1, s0
	s_mul_i32 s1, s35, s36
	s_add_i32 s37, s0, s1
	s_mul_i32 s1, s34, s36
	v_mov_b32_e32 v1, s1
	s_sub_i32 s0, s25, s37
	v_sub_co_u32_e32 v1, vcc, s24, v1
	s_cmp_lg_u64 vcc, 0
	s_subb_u32 s39, s0, s35
	v_subrev_co_u32_e64 v4, s[0:1], s34, v1
	s_cmp_lg_u64 s[0:1], 0
	s_subb_u32 s0, s39, 0
	s_cmp_ge_u32 s0, s35
	v_readfirstlane_b32 s39, v4
	s_cselect_b32 s1, -1, 0
	s_cmp_ge_u32 s39, s34
	s_cselect_b32 s39, -1, 0
	s_cmp_eq_u32 s0, s35
	s_cselect_b32 s0, s39, s1
	s_add_u32 s1, s36, 1
	s_addc_u32 s39, s31, 0
	s_add_u32 s40, s36, 2
	s_addc_u32 s41, s31, 0
	s_cmp_lg_u32 s0, 0
	s_cselect_b32 s0, s40, s1
	s_cselect_b32 s1, s41, s39
	s_cmp_lg_u64 vcc, 0
	s_subb_u32 s37, s25, s37
	s_cmp_ge_u32 s37, s35
	v_readfirstlane_b32 s40, v1
	s_cselect_b32 s39, -1, 0
	s_cmp_ge_u32 s40, s34
	s_cselect_b32 s40, -1, 0
	s_cmp_eq_u32 s37, s35
	s_cselect_b32 s37, s40, s39
	s_cmp_lg_u32 s37, 0
	s_cselect_b32 s1, s1, s31
	s_cselect_b32 s0, s0, s36
	s_cbranch_execnz .LBB0_9
.LBB0_8:                                ;   in Loop: Header=BB0_6 Depth=1
	v_cvt_f32_u32_e32 v1, s34
	s_sub_i32 s0, 0, s34
	v_rcp_iflag_f32_e32 v1, v1
	s_nop 0
	v_mul_f32_e32 v1, 0x4f7ffffe, v1
	v_cvt_u32_f32_e32 v1, v1
	s_nop 0
	v_readfirstlane_b32 s1, v1
	s_mul_i32 s0, s0, s1
	s_mul_hi_u32 s0, s1, s0
	s_add_i32 s1, s1, s0
	s_mul_hi_u32 s0, s24, s1
	s_mul_i32 s31, s0, s34
	s_sub_i32 s31, s24, s31
	s_add_i32 s1, s0, 1
	s_sub_i32 s36, s31, s34
	s_cmp_ge_u32 s31, s34
	s_cselect_b32 s0, s1, s0
	s_cselect_b32 s31, s36, s31
	s_add_i32 s1, s0, 1
	s_cmp_ge_u32 s31, s34
	s_cselect_b32 s0, s1, s0
	s_mov_b32 s1, s30
.LBB0_9:                                ;   in Loop: Header=BB0_6 Depth=1
	s_mul_i32 s21, s34, s21
	s_mul_hi_u32 s31, s34, s20
	s_add_i32 s21, s31, s21
	s_mul_i32 s31, s35, s20
	s_add_i32 s21, s21, s31
	s_mul_i32 s31, s0, s35
	s_mul_hi_u32 s35, s0, s34
	s_load_dwordx2 s[36:37], s[26:27], 0x0
	s_add_i32 s31, s35, s31
	s_mul_i32 s35, s1, s34
	s_mul_i32 s20, s34, s20
	s_add_i32 s31, s31, s35
	s_mul_i32 s34, s0, s34
	s_sub_u32 s24, s24, s34
	s_subb_u32 s25, s25, s31
	s_waitcnt lgkmcnt(0)
	s_mul_i32 s25, s36, s25
	s_mul_hi_u32 s31, s36, s24
	s_add_i32 s25, s31, s25
	s_mul_i32 s31, s37, s24
	s_add_i32 s25, s25, s31
	s_mul_i32 s24, s36, s24
	s_add_u32 s38, s24, s38
	s_addc_u32 s33, s25, s33
	s_add_u32 s28, s28, 1
	s_addc_u32 s29, s29, 0
	;; [unrolled: 2-line block ×3, first 2 shown]
	s_add_u32 s8, s8, 8
	v_cmp_ge_u64_e32 vcc, s[28:29], v[2:3]
	s_addc_u32 s9, s9, 0
	s_cbranch_vccnz .LBB0_12
; %bb.10:                               ;   in Loop: Header=BB0_6 Depth=1
	s_mov_b64 s[24:25], s[0:1]
	s_branch .LBB0_6
.LBB0_11:                               ;   in Loop: Header=BB0_6 Depth=1
                                        ; implicit-def: $sgpr0_sgpr1
	s_branch .LBB0_8
.LBB0_12:
	v_mov_b64_e32 v[2:3], s[20:21]
	v_cmp_lt_u64_e32 vcc, s[2:3], v[2:3]
	s_mov_b64 s[24:25], 0
	s_cbranch_vccnz .LBB0_14
; %bb.13:
	v_cvt_f32_u32_e32 v1, s20
	s_sub_i32 s0, 0, s20
	v_rcp_iflag_f32_e32 v1, v1
	s_nop 0
	v_mul_f32_e32 v1, 0x4f7ffffe, v1
	v_cvt_u32_f32_e32 v1, v1
	s_nop 0
	v_readfirstlane_b32 s1, v1
	s_mul_i32 s0, s0, s1
	s_mul_hi_u32 s0, s1, s0
	s_add_i32 s1, s1, s0
	s_mul_hi_u32 s0, s2, s1
	s_mul_i32 s3, s0, s20
	s_sub_i32 s2, s2, s3
	s_add_i32 s1, s0, 1
	s_sub_i32 s3, s2, s20
	s_cmp_ge_u32 s2, s20
	s_cselect_b32 s0, s1, s0
	s_cselect_b32 s2, s3, s2
	s_add_i32 s1, s0, 1
	s_cmp_ge_u32 s2, s20
	s_cselect_b32 s24, s1, s0
.LBB0_14:
	s_lshl_b64 s[0:1], s[6:7], 3
	s_add_u32 s0, s10, s0
	s_addc_u32 s1, s11, s1
	s_load_dwordx2 s[0:1], s[0:1], 0x0
	s_mov_b32 s2, 0x2aaaaaab
	v_mul_hi_u32 v24, v0, s2
	v_mul_u32_u24_e32 v1, 6, v24
	v_sub_u32_e32 v14, v0, v1
	s_waitcnt lgkmcnt(0)
	s_mul_i32 s1, s1, s24
	s_mul_hi_u32 s2, s0, s24
	s_mul_i32 s0, s0, s24
	s_add_i32 s2, s2, s1
	s_add_u32 s6, s0, s38
	s_addc_u32 s7, s2, s33
	v_mov_b32_e32 v15, 0
	s_add_u32 s0, s22, 6
	v_lshl_add_u64 v[16:17], s[22:23], 0, v[14:15]
	s_addc_u32 s1, s23, 0
	v_mov_b64_e32 v[2:3], s[18:19]
	v_cmp_le_u64_e32 vcc, s[0:1], v[2:3]
	v_cmp_gt_u64_e64 s[0:1], s[18:19], v[16:17]
	s_or_b64 s[8:9], vcc, s[0:1]
                                        ; implicit-def: $vgpr4
                                        ; implicit-def: $vgpr6
                                        ; implicit-def: $vgpr8
                                        ; implicit-def: $vgpr2
                                        ; implicit-def: $vgpr18
                                        ; implicit-def: $vgpr10
                                        ; implicit-def: $vgpr12
	s_and_saveexec_b64 s[2:3], s[8:9]
	s_cbranch_execz .LBB0_16
; %bb.15:
	v_mad_u64_u32 v[2:3], s[8:9], s14, v14, 0
	v_mov_b32_e32 v4, v3
	v_mad_u64_u32 v[4:5], s[8:9], s15, v14, v[4:5]
	v_mov_b32_e32 v3, v4
	v_mad_u64_u32 v[4:5], s[8:9], s12, v24, 0
	v_mov_b32_e32 v6, v5
	v_mad_u64_u32 v[6:7], s[8:9], s13, v24, v[6:7]
	s_lshl_b64 s[8:9], s[6:7], 3
	s_add_u32 s8, s4, s8
	s_addc_u32 s9, s5, s9
	v_mov_b32_e32 v5, v6
	v_lshl_add_u64 v[6:7], v[2:3], 3, s[8:9]
	v_add_u32_e32 v1, 56, v24
	v_lshl_add_u64 v[2:3], v[4:5], 3, v[6:7]
	v_mad_u64_u32 v[4:5], s[8:9], s12, v1, 0
	v_mov_b32_e32 v8, v5
	v_mad_u64_u32 v[8:9], s[8:9], s13, v1, v[8:9]
	v_mov_b32_e32 v5, v8
	v_add_u32_e32 v1, 0x70, v24
	v_lshl_add_u64 v[18:19], v[4:5], 3, v[6:7]
	v_mad_u64_u32 v[4:5], s[8:9], s12, v1, 0
	v_mov_b32_e32 v8, v5
	v_mad_u64_u32 v[8:9], s[8:9], s13, v1, v[8:9]
	v_mov_b32_e32 v5, v8
	;; [unrolled: 6-line block ×5, first 2 shown]
	global_load_dwordx2 v[2:3], v[2:3], off
	v_lshl_add_u64 v[28:29], v[4:5], 3, v[6:7]
	global_load_dwordx2 v[6:7], v[22:23], off
	global_load_dwordx2 v[10:11], v[20:21], off
	;; [unrolled: 1-line block ×5, first 2 shown]
	s_waitcnt vmcnt(5)
	v_mov_b32_e32 v18, v3
.LBB0_16:
	s_or_b64 exec, exec, s[2:3]
	s_waitcnt vmcnt(1)
	v_pk_add_f32 v[20:21], v[10:11], v[12:13]
	v_mov_b32_e32 v3, v4
	v_mov_b32_e32 v28, v10
	;; [unrolled: 1-line block ×3, first 2 shown]
	v_fma_f32 v20, -0.5, v20, v2
	v_pk_add_f32 v[2:3], v[2:3], v[28:29]
	v_mov_b32_e32 v28, v12
	s_waitcnt vmcnt(0)
	v_mov_b32_e32 v29, v8
	s_mov_b32 s8, 0x3f5db3d7
	v_pk_add_f32 v[2:3], v[2:3], v[28:29]
	v_pk_add_f32 v[28:29], v[6:7], v[8:9]
	v_pk_add_f32 v[30:31], v[6:7], v[8:9] neg_lo:[0,1] neg_hi:[0,1]
	v_mov_b32_e32 v19, v5
	v_mov_b32_e32 v6, v11
	s_mov_b32 s9, 0.5
	v_pk_add_f32 v[6:7], v[18:19], v[6:7]
	v_mov_b32_e32 v8, v13
	v_pk_add_f32 v[6:7], v[6:7], v[8:9]
	v_pk_fma_f32 v[4:5], -0.5, v[28:29], v[4:5] op_sel_hi:[0,1,1]
	v_pk_mul_f32 v[8:9], v[30:31], s[8:9] op_sel_hi:[1,0]
	s_mov_b32 s2, -0.5
	v_pk_add_f32 v[22:23], v[10:11], v[12:13] neg_lo:[0,1] neg_hi:[0,1]
	v_pk_add_f32 v[12:13], v[4:5], v[8:9] op_sel:[0,1] op_sel_hi:[1,0] neg_lo:[0,1] neg_hi:[0,1]
	s_mov_b32 s3, s8
	v_mov_b32_e32 v10, v18
	v_pk_add_f32 v[18:19], v[4:5], v[8:9] op_sel:[0,1] op_sel_hi:[1,0]
	v_pk_mul_f32 v[28:29], v[12:13], s[2:3]
	v_mov_b32_e32 v19, v13
	v_mov_b32_e32 v4, v29
	;; [unrolled: 1-line block ×3, first 2 shown]
	v_pk_fma_f32 v[28:29], v[18:19], s[2:3], v[4:5] neg_lo:[0,0,1] neg_hi:[0,0,1]
	v_pk_add_f32 v[4:5], v[0:1], v[4:5]
	v_fmac_f32_e32 v10, -0.5, v21
	v_mul_f32_e32 v11, 0x3f5db3d7, v12
	v_mov_b32_e32 v4, v22
	v_pk_mul_f32 v[8:9], v[22:23], s[8:9]
	v_mul_f32_e32 v22, 0xbf5db3d7, v5
	v_pk_fma_f32 v[4:5], v[4:5], s[8:9], v[10:11]
	v_mul_f32_e32 v11, 0x3f5db3d7, v18
	v_mul_f32_e32 v9, 0.5, v13
	v_pk_add_f32 v[8:9], v[10:11], v[8:9] neg_lo:[0,1] neg_hi:[0,1]
	s_movk_i32 s2, 0x120
	v_fmamk_f32 v26, v23, 0xbf5db3d7, v20
	v_fmac_f32_e32 v20, 0x3f5db3d7, v23
	v_mov_b32_e32 v30, v2
	v_mov_b32_e32 v31, v6
	;; [unrolled: 1-line block ×3, first 2 shown]
	v_fmac_f32_e32 v22, 0.5, v12
	v_mad_u32_u24 v15, v24, s2, 0
	v_mov_b32_e32 v27, v4
	v_mov_b32_e32 v23, v5
	;; [unrolled: 1-line block ×4, first 2 shown]
	v_pk_add_f32 v[2:3], v[30:31], v[6:7]
	v_lshl_add_u32 v1, v14, 3, v15
	v_pk_add_f32 v[4:5], v[26:27], v[22:23]
	v_pk_add_f32 v[10:11], v[20:21], v[28:29]
	v_pk_add_f32 v[12:13], v[30:31], v[6:7] neg_lo:[0,1] neg_hi:[0,1]
	v_pk_add_f32 v[6:7], v[26:27], v[22:23] neg_lo:[0,1] neg_hi:[0,1]
	;; [unrolled: 1-line block ×3, first 2 shown]
	ds_write2_b64 v1, v[2:3], v[4:5] offset1:6
	ds_write2_b64 v1, v[10:11], v[12:13] offset0:12 offset1:18
	ds_write2_b64 v1, v[6:7], v[8:9] offset0:24 offset1:30
	v_cmp_gt_u32_e64 s[2:3], s2, v0
	v_lshlrev_b32_e32 v1, 3, v14
	s_waitcnt lgkmcnt(0)
	s_barrier
	s_waitcnt lgkmcnt(0)
                                        ; implicit-def: $vgpr18
                                        ; implicit-def: $vgpr20
	s_and_saveexec_b64 s[8:9], s[2:3]
	s_cbranch_execz .LBB0_18
; %bb.17:
	v_mul_i32_i24_e32 v2, 0xffffff10, v24
	v_add3_u32 v12, v15, v2, v1
	ds_read_b64 v[6:7], v12 offset:9216
	ds_read_b64 v[8:9], v12 offset:11520
	;; [unrolled: 1-line block ×3, first 2 shown]
	ds_read_b64 v[2:3], v12
	ds_read_b64 v[4:5], v12 offset:2304
	ds_read_b64 v[10:11], v12 offset:4608
	;; [unrolled: 1-line block ×3, first 2 shown]
	s_waitcnt lgkmcnt(4)
	v_mov_b32_e32 v18, v21
.LBB0_18:
	s_or_b64 exec, exec, s[8:9]
	s_mov_b32 s8, 0x2aaaaaab
	v_mul_hi_u32 v15, v24, s8
	v_mul_u32_u24_e32 v15, 6, v15
	v_sub_u32_e32 v15, v24, v15
	v_mul_u32_u24_e32 v17, 6, v15
	v_lshlrev_b32_e32 v17, 3, v17
	global_load_dwordx4 v[26:29], v17, s[16:17]
	global_load_dwordx4 v[30:33], v17, s[16:17] offset:16
	global_load_dwordx4 v[34:37], v17, s[16:17] offset:32
	s_waitcnt lgkmcnt(2)
	v_mov_b32_e32 v22, v5
	v_mov_b32_e32 v38, v5
	s_waitcnt lgkmcnt(1)
	v_mov_b32_e32 v40, v11
	v_mov_b32_e32 v42, v11
	;; [unrolled: 3-line block ×3, first 2 shown]
	v_mov_b32_e32 v48, v7
	v_mov_b32_e32 v50, v7
	v_mov_b32_e32 v52, v9
	v_mov_b32_e32 v54, v9
	s_mov_b32 s10, 0xbeae86e6
	s_mov_b32 s11, 0x3f08b237
	;; [unrolled: 1-line block ×8, first 2 shown]
	s_barrier
	s_waitcnt vmcnt(2)
	v_pk_mul_f32 v[4:5], v[4:5], v[26:27] op_sel_hi:[0,1]
	v_pk_mul_f32 v[10:11], v[10:11], v[28:29] op_sel_hi:[0,1]
	s_waitcnt vmcnt(1)
	v_pk_mul_f32 v[12:13], v[12:13], v[30:31] op_sel_hi:[0,1]
	v_pk_mul_f32 v[6:7], v[6:7], v[32:33] op_sel_hi:[0,1]
	;; [unrolled: 3-line block ×3, first 2 shown]
	v_pk_fma_f32 v[22:23], v[22:23], v[26:27], v[4:5] op_sel:[0,0,1] op_sel_hi:[1,1,0] neg_lo:[0,0,1] neg_hi:[0,0,1]
	v_pk_fma_f32 v[4:5], v[38:39], v[26:27], v[4:5] op_sel:[0,0,1] op_sel_hi:[0,1,0]
	v_pk_fma_f32 v[26:27], v[40:41], v[28:29], v[10:11] op_sel:[0,0,1] op_sel_hi:[1,1,0] neg_lo:[0,0,1] neg_hi:[0,0,1]
	v_pk_fma_f32 v[10:11], v[42:43], v[28:29], v[10:11] op_sel:[0,0,1] op_sel_hi:[0,1,0]
	;; [unrolled: 2-line block ×6, first 2 shown]
	v_mov_b32_e32 v23, v5
	v_mov_b32_e32 v27, v11
	;; [unrolled: 1-line block ×7, first 2 shown]
	v_pk_add_f32 v[12:13], v[22:23], v[34:35] neg_lo:[0,1] neg_hi:[0,1]
	v_pk_add_f32 v[18:19], v[26:27], v[32:33] neg_lo:[0,1] neg_hi:[0,1]
	;; [unrolled: 1-line block ×3, first 2 shown]
	v_pk_add_f32 v[22:23], v[22:23], v[34:35]
	v_pk_add_f32 v[26:27], v[26:27], v[32:33]
	v_mov_b32_e32 v5, v28
	v_mov_b32_e32 v9, v30
	;; [unrolled: 1-line block ×11, first 2 shown]
	v_pk_add_f32 v[28:29], v[20:21], v[18:19]
	v_mov_b32_e32 v34, v12
	v_mov_b32_e32 v35, v21
	;; [unrolled: 1-line block ×3, first 2 shown]
	v_pk_add_f32 v[30:31], v[30:31], v[32:33] neg_lo:[0,1] neg_hi:[0,1]
	v_pk_add_f32 v[4:5], v[4:5], v[8:9]
	v_pk_add_f32 v[6:7], v[6:7], v[10:11]
	v_pk_add_f32 v[36:37], v[26:27], v[22:23] neg_lo:[0,1] neg_hi:[0,1]
	v_mov_b32_e32 v39, v22
	v_mov_b32_e32 v22, v27
	;; [unrolled: 1-line block ×4, first 2 shown]
	v_pk_add_f32 v[20:21], v[34:35], v[20:21] neg_lo:[0,1] neg_hi:[0,1]
	v_pk_mul_f32 v[10:11], v[30:31], s[22:23]
	v_mov_b32_e32 v38, v6
	v_mov_b32_e32 v23, v5
	;; [unrolled: 1-line block ×4, first 2 shown]
	v_pk_add_f32 v[18:19], v[18:19], v[12:13] neg_lo:[0,1] neg_hi:[0,1]
	v_pk_add_f32 v[12:13], v[28:29], v[12:13]
	v_pk_mul_f32 v[8:9], v[20:21], s[10:11]
	v_pk_add_f32 v[4:5], v[4:5], v[6:7]
	v_pk_fma_f32 v[6:7], v[20:21], s[10:11], v[10:11]
	v_pk_add_f32 v[20:21], v[38:39], v[22:23] neg_lo:[0,1] neg_hi:[0,1]
	v_pk_add_f32 v[22:23], v[40:41], v[26:27] neg_lo:[0,1] neg_hi:[0,1]
	s_mov_b32 s10, s21
	s_mov_b32 s11, s20
	v_pk_fma_f32 v[26:27], v[12:13], s[8:9], v[6:7] op_sel_hi:[1,0,1]
	v_pk_mul_f32 v[6:7], v[20:21], s[20:21]
	v_pk_mul_f32 v[20:21], v[22:23], s[10:11]
	s_mov_b32 s20, 0x3f3bfb3b
	v_pk_add_f32 v[2:3], v[2:3], v[4:5]
	v_pk_mul_f32 v[28:29], v[36:37], s[20:21] op_sel_hi:[1,0]
	s_mov_b32 s20, 0xbf5ff5aa
	v_pk_fma_f32 v[22:23], v[22:23], s[10:11], v[6:7]
	v_mov_b32_e32 v30, v20
	v_mov_b32_e32 v31, v7
	;; [unrolled: 1-line block ×6, first 2 shown]
	v_pk_fma_f32 v[4:5], v[4:5], s[18:19], v[2:3] op_sel_hi:[1,0,1]
	v_pk_add_f32 v[30:31], v[30:31], v[28:29] op_sel:[0,1] op_sel_hi:[1,0] neg_lo:[1,1] neg_hi:[1,1]
	v_pk_fma_f32 v[32:33], v[18:19], s[20:21], v[32:33] op_sel_hi:[1,0,1] neg_lo:[1,0,1] neg_hi:[1,0,1]
	v_pk_add_f32 v[6:7], v[28:29], v[6:7] op_sel:[1,0] op_sel_hi:[0,1] neg_lo:[0,1] neg_hi:[0,1]
	v_pk_fma_f32 v[8:9], v[18:19], s[20:21], v[10:11] op_sel_hi:[1,0,1] neg_lo:[0,0,1] neg_hi:[0,0,1]
	v_pk_add_f32 v[22:23], v[22:23], v[4:5]
	v_pk_add_f32 v[30:31], v[30:31], v[4:5]
	;; [unrolled: 1-line block ×3, first 2 shown]
	v_pk_fma_f32 v[8:9], v[12:13], s[8:9], v[8:9] op_sel_hi:[1,0,1]
	v_pk_fma_f32 v[10:11], v[12:13], s[8:9], v[32:33] op_sel_hi:[1,0,1]
	v_pk_add_f32 v[6:7], v[22:23], v[26:27]
	v_pk_add_f32 v[18:19], v[22:23], v[26:27] neg_lo:[0,1] neg_hi:[0,1]
	v_pk_add_f32 v[12:13], v[30:31], v[10:11]
	v_pk_add_f32 v[20:21], v[30:31], v[10:11] neg_lo:[0,1] neg_hi:[0,1]
	v_pk_add_f32 v[10:11], v[4:5], v[8:9] neg_lo:[0,1] neg_hi:[0,1]
	v_pk_add_f32 v[22:23], v[4:5], v[8:9]
	s_and_saveexec_b64 s[8:9], s[2:3]
	s_cbranch_execz .LBB0_20
; %bb.19:
	v_mul_lo_u16_e32 v4, 43, v24
	v_lshrrev_b16_e32 v4, 8, v4
	v_mad_u32_u24 v4, v4, 42, v15
	v_mul_i32_i24_e32 v4, 48, v4
	v_add3_u32 v15, 0, v4, v1
	v_mov_b32_e32 v4, v6
	v_mov_b32_e32 v5, v19
	ds_write2_b64 v15, v[2:3], v[4:5] offset1:36
	v_mov_b32_e32 v4, v12
	v_mov_b32_e32 v5, v21
	;; [unrolled: 1-line block ×4, first 2 shown]
	ds_write2_b64 v15, v[4:5], v[8:9] offset0:72 offset1:108
	v_mov_b32_e32 v4, v22
	v_mov_b32_e32 v5, v11
	;; [unrolled: 1-line block ×4, first 2 shown]
	ds_write2_b64 v15, v[4:5], v[8:9] offset0:144 offset1:180
	v_mov_b32_e32 v4, v18
	v_mov_b32_e32 v5, v7
	ds_write_b64 v15, v[4:5] offset:1728
.LBB0_20:
	s_or_b64 exec, exec, s[8:9]
	s_movk_i32 s2, 0xfc
	v_cmp_gt_u32_e64 s[2:3], s2, v0
	s_waitcnt lgkmcnt(0)
	s_barrier
	s_waitcnt lgkmcnt(0)
                                        ; implicit-def: $vgpr0
	s_and_saveexec_b64 s[8:9], s[2:3]
	s_cbranch_execz .LBB0_22
; %bb.21:
	v_mul_u32_u24_e32 v0, 48, v24
	v_add3_u32 v0, 0, v0, v1
	v_add_u32_e32 v1, 0x2f40, v0
	ds_read2_b64 v[2:5], v0 offset1:252
	ds_read2_b64 v[6:9], v1 offset1:252
	v_add_u32_e32 v1, 0x1f80, v0
	v_add_u32_e32 v0, 0xfc0, v0
	ds_read2_b64 v[10:13], v1 offset1:252
	ds_read2_b64 v[26:29], v0 offset1:252
	s_waitcnt lgkmcnt(2)
	v_mov_b32_e32 v0, v9
	v_mov_b32_e32 v18, v6
	;; [unrolled: 1-line block ×3, first 2 shown]
	s_waitcnt lgkmcnt(1)
	v_mov_b32_e32 v20, v12
	v_mov_b32_e32 v22, v10
	s_waitcnt lgkmcnt(0)
	v_mov_b32_e32 v23, v29
	v_mov_b32_e32 v10, v28
	;; [unrolled: 1-line block ×5, first 2 shown]
.LBB0_22:
	s_or_b64 exec, exec, s[8:9]
	s_mov_b32 s8, 0x6186187
	v_mul_hi_u32 v1, v24, s8
	v_mul_u32_u24_e32 v1, 42, v1
	v_sub_u32_e32 v1, v24, v1
	v_mul_u32_u24_e32 v4, 7, v1
	v_mul_lo_u32 v1, v1, v16
	v_lshrrev_b32_e32 v5, 3, v1
	s_add_i32 s8, 0, 0x3f00
	v_and_b32_e32 v5, 0x1f8, v5
	v_lshlrev_b32_e32 v9, 3, v4
	v_and_b32_e32 v4, 63, v1
	v_add_u32_e32 v15, s8, v5
	v_lshrrev_b32_e32 v5, 9, v1
	v_lshl_add_u32 v4, v4, 3, 0
	v_and_b32_e32 v5, 0x1f8, v5
	v_add_u32_e32 v25, s8, v5
	v_mul_lo_u32 v46, v16, 42
	ds_read_b64 v[4:5], v4 offset:16128
	ds_read_b64 v[16:17], v15 offset:512
	v_add_u32_e32 v1, v1, v46
	v_and_b32_e32 v15, 63, v1
	v_lshl_add_u32 v15, v15, 3, 0
	ds_read_b64 v[26:27], v25 offset:1024
	ds_read_b64 v[34:35], v15 offset:16128
	s_waitcnt lgkmcnt(2)
	v_mul_f32_e32 v15, v5, v17
	v_fma_f32 v15, v4, v16, -v15
	v_mul_f32_e32 v4, v4, v17
	v_fmac_f32_e32 v4, v5, v16
	s_waitcnt lgkmcnt(1)
	v_mul_f32_e32 v5, v4, v27
	v_fma_f32 v25, v26, v15, -v5
	v_mul_f32_e32 v15, v15, v27
	v_lshrrev_b32_e32 v5, 9, v1
	v_fmac_f32_e32 v15, v26, v4
	v_lshrrev_b32_e32 v4, 3, v1
	v_and_b32_e32 v5, 0x1f8, v5
	v_add_u32_e32 v1, v1, v46
	v_and_b32_e32 v4, 0x1f8, v4
	v_add_u32_e32 v16, s8, v5
	;; [unrolled: 2-line block ×3, first 2 shown]
	v_lshl_add_u32 v36, v5, 3, 0
	v_lshrrev_b32_e32 v5, 3, v1
	global_load_dwordx4 v[26:29], v9, s[16:17] offset:304
	global_load_dwordx4 v[30:33], v9, s[16:17] offset:288
	v_and_b32_e32 v17, 0x1f8, v5
	ds_read_b64 v[4:5], v4 offset:512
	v_add_u32_e32 v37, s8, v17
	ds_read_b64 v[16:17], v16 offset:1024
	ds_read_b64 v[38:39], v36 offset:16128
	;; [unrolled: 1-line block ×3, first 2 shown]
	s_and_b64 s[10:11], s[2:3], vcc
	s_waitcnt lgkmcnt(3)
	v_mul_f32_e32 v36, v35, v5
	v_mul_f32_e32 v5, v34, v5
	v_fmac_f32_e32 v5, v35, v4
	v_fma_f32 v36, v34, v4, -v36
	s_waitcnt lgkmcnt(2)
	v_mul_f32_e32 v4, v5, v17
	v_fma_f32 v47, v16, v36, -v4
	s_waitcnt lgkmcnt(0)
	v_mul_f32_e32 v4, v39, v41
	v_mul_f32_e32 v48, v36, v17
	global_load_dwordx4 v[34:37], v9, s[16:17] offset:320
	v_fma_f32 v44, v38, v40, -v4
	v_lshrrev_b32_e32 v4, 9, v1
	v_and_b32_e32 v4, 0x1f8, v4
	v_fmac_f32_e32 v48, v16, v5
	v_add_u32_e32 v16, s8, v4
	global_load_dwordx2 v[4:5], v9, s[16:17] offset:336
	v_add_u32_e32 v1, v1, v46
	v_lshrrev_b32_e32 v17, 3, v1
	v_mul_f32_e32 v45, v38, v41
	v_and_b32_e32 v17, 0x1f8, v17
	v_fmac_f32_e32 v45, v39, v40
	v_add_u32_e32 v40, s8, v17
	v_lshrrev_b32_e32 v17, 9, v1
	v_and_b32_e32 v9, 63, v1
	v_and_b32_e32 v38, 0x1f8, v17
	ds_read_b64 v[16:17], v16 offset:1024
	v_lshl_add_u32 v9, v9, 3, 0
	v_add_u32_e32 v42, s8, v38
	ds_read_b64 v[38:39], v9 offset:16128
	ds_read_b64 v[40:41], v40 offset:512
	;; [unrolled: 1-line block ×3, first 2 shown]
	v_add_u32_e32 v1, v1, v46
	s_waitcnt lgkmcnt(3)
	v_mul_f32_e32 v9, v45, v17
	v_fma_f32 v49, v16, v44, -v9
	v_mul_f32_e32 v50, v44, v17
	s_waitcnt lgkmcnt(1)
	v_mul_f32_e32 v9, v39, v41
	v_fmac_f32_e32 v50, v16, v45
	v_fma_f32 v9, v38, v40, -v9
	v_mul_f32_e32 v16, v38, v41
	v_fmac_f32_e32 v16, v39, v40
	s_waitcnt lgkmcnt(0)
	v_mul_f32_e32 v52, v9, v43
	v_mul_f32_e32 v17, v16, v43
	v_fmac_f32_e32 v52, v42, v16
	v_lshrrev_b32_e32 v16, 3, v1
	v_and_b32_e32 v16, 0x1f8, v16
	v_fma_f32 v51, v42, v9, -v17
	v_and_b32_e32 v9, 63, v1
	v_add_u32_e32 v38, s8, v16
	v_lshrrev_b32_e32 v16, 9, v1
	v_lshl_add_u32 v9, v9, 3, 0
	v_and_b32_e32 v16, 0x1f8, v16
	v_add_u32_e32 v40, s8, v16
	ds_read_b64 v[16:17], v9 offset:16128
	ds_read_b64 v[38:39], v38 offset:512
	v_add_u32_e32 v53, v1, v46
	v_and_b32_e32 v1, 63, v53
	v_lshl_add_u32 v1, v1, 3, 0
	ds_read_b64 v[40:41], v40 offset:1024
	ds_read_b64 v[42:43], v1 offset:16128
	s_waitcnt lgkmcnt(2)
	v_mul_f32_e32 v1, v16, v38
	v_fma_f32 v1, -v17, v39, v1
	v_pk_mul_f32 v[16:17], v[16:17], v[38:39] op_sel:[1,0] op_sel_hi:[0,1]
	v_add_f32_e32 v9, v16, v17
	s_waitcnt lgkmcnt(1)
	v_mul_f32_e32 v16, v9, v41
	v_mul_f32_e32 v38, v1, v41
	v_fma_f32 v16, v40, v1, -v16
	v_fmac_f32_e32 v38, v40, v9
	v_mov_b32_e32 v40, v19
	s_waitcnt vmcnt(2)
	v_pk_mul_f32 v[40:41], v[40:41], v[30:31] op_sel_hi:[0,1]
	v_pk_fma_f32 v[44:45], v[6:7], v[30:31], v[40:41] op_sel:[0,0,1] op_sel_hi:[1,1,0]
	v_pk_fma_f32 v[30:31], v[6:7], v[30:31], v[40:41] op_sel:[0,0,1] op_sel_hi:[0,1,0] neg_lo:[1,0,0] neg_hi:[1,0,0]
	v_mov_b32_e32 v6, v21
	v_mov_b32_e32 v45, v31
	v_pk_mul_f32 v[30:31], v[6:7], v[32:33] op_sel_hi:[0,1]
	v_pk_fma_f32 v[40:41], v[12:13], v[32:33], v[30:31] op_sel:[0,0,1] op_sel_hi:[1,1,0]
	v_pk_fma_f32 v[30:31], v[12:13], v[32:33], v[30:31] op_sel:[0,0,1] op_sel_hi:[0,1,0] neg_lo:[1,0,0] neg_hi:[1,0,0]
	v_mov_b32_e32 v6, v23
	v_mov_b32_e32 v41, v31
	v_pk_mul_f32 v[30:31], v[6:7], v[26:27] op_sel_hi:[0,1]
	v_mov_b32_e32 v6, v11
	v_pk_fma_f32 v[32:33], v[10:11], v[26:27], v[30:31] op_sel:[0,0,1] op_sel_hi:[1,1,0]
	v_pk_fma_f32 v[26:27], v[10:11], v[26:27], v[30:31] op_sel:[0,0,1] op_sel_hi:[0,1,0] neg_lo:[1,0,0] neg_hi:[1,0,0]
	v_pk_mul_f32 v[10:11], v[6:7], v[28:29] op_sel_hi:[0,1]
	v_mov_b32_e32 v33, v27
	v_pk_fma_f32 v[26:27], v[22:23], v[28:29], v[10:11] op_sel:[0,0,1] op_sel_hi:[1,1,0]
	v_pk_fma_f32 v[10:11], v[22:23], v[28:29], v[10:11] op_sel:[0,0,1] op_sel_hi:[0,1,0] neg_lo:[1,0,0] neg_hi:[1,0,0]
	v_mov_b32_e32 v6, v13
	v_mov_b32_e32 v27, v11
	s_waitcnt vmcnt(1)
	v_pk_mul_f32 v[10:11], v[6:7], v[34:35] op_sel_hi:[0,1]
	v_mov_b32_e32 v6, v7
	v_pk_fma_f32 v[12:13], v[20:21], v[34:35], v[10:11] op_sel:[0,0,1] op_sel_hi:[1,1,0]
	v_pk_fma_f32 v[10:11], v[20:21], v[34:35], v[10:11] op_sel:[0,0,1] op_sel_hi:[0,1,0] neg_lo:[1,0,0] neg_hi:[1,0,0]
	v_pk_mul_f32 v[6:7], v[6:7], v[36:37] op_sel_hi:[0,1]
	v_mov_b32_e32 v13, v11
	v_pk_fma_f32 v[10:11], v[18:19], v[36:37], v[6:7] op_sel:[0,0,1] op_sel_hi:[1,1,0]
	v_pk_fma_f32 v[6:7], v[18:19], v[36:37], v[6:7] op_sel:[0,0,1] op_sel_hi:[0,1,0] neg_lo:[1,0,0] neg_hi:[1,0,0]
	s_waitcnt vmcnt(0)
	v_pk_mul_f32 v[0:1], v[0:1], v[4:5] op_sel_hi:[0,1]
	v_mov_b32_e32 v11, v7
	v_pk_fma_f32 v[6:7], v[8:9], v[4:5], v[0:1] op_sel:[0,0,1] op_sel_hi:[1,1,0]
	v_pk_fma_f32 v[0:1], v[8:9], v[4:5], v[0:1] op_sel:[0,0,1] op_sel_hi:[0,1,0] neg_lo:[1,0,0] neg_hi:[1,0,0]
	v_mov_b32_e32 v7, v1
	v_pk_add_f32 v[0:1], v[2:3], v[26:27] neg_lo:[0,1] neg_hi:[0,1]
	v_pk_add_f32 v[4:5], v[40:41], v[10:11] neg_lo:[0,1] neg_hi:[0,1]
	;; [unrolled: 1-line block ×4, first 2 shown]
	v_pk_fma_f32 v[12:13], v[44:45], 2.0, v[10:11] op_sel_hi:[1,0,1] neg_lo:[0,0,1] neg_hi:[0,0,1]
	v_pk_fma_f32 v[18:19], v[32:33], 2.0, v[6:7] op_sel_hi:[1,0,1] neg_lo:[0,0,1] neg_hi:[0,0,1]
	v_add_f32_e32 v17, v0, v5
	v_sub_f32_e32 v20, v1, v4
	v_pk_fma_f32 v[2:3], v[2:3], 2.0, v[0:1] op_sel_hi:[1,0,1] neg_lo:[0,0,1] neg_hi:[0,0,1]
	v_pk_fma_f32 v[8:9], v[40:41], 2.0, v[4:5] op_sel_hi:[1,0,1] neg_lo:[0,0,1] neg_hi:[0,0,1]
	v_fma_f32 v21, v0, 2.0, -v17
	v_fma_f32 v22, v1, 2.0, -v20
	v_pk_add_f32 v[0:1], v[12:13], v[18:19] neg_lo:[0,1] neg_hi:[0,1]
	v_sub_f32_e32 v6, v11, v6
	v_pk_add_f32 v[8:9], v[2:3], v[8:9] neg_lo:[0,1] neg_hi:[0,1]
	v_pk_fma_f32 v[4:5], v[12:13], 2.0, v[0:1] op_sel_hi:[1,0,1] neg_lo:[0,0,1] neg_hi:[0,0,1]
	v_add_f32_e32 v7, v10, v7
	v_fma_f32 v13, v11, 2.0, -v6
	v_pk_fma_f32 v[2:3], v[2:3], 2.0, v[8:9] op_sel_hi:[1,0,1] neg_lo:[0,0,1] neg_hi:[0,0,1]
	v_fma_f32 v12, v10, 2.0, -v7
	v_fmamk_f32 v26, v13, 0xbf3504f3, v22
	v_pk_add_f32 v[10:11], v[2:3], v[4:5] neg_lo:[0,1] neg_hi:[0,1]
	v_fmac_f32_e32 v26, 0xbf3504f3, v12
	v_fma_f32 v3, v3, 2.0, -v11
	v_fmamk_f32 v23, v12, 0xbf3504f3, v21
	v_fma_f32 v5, v22, 2.0, -v26
	v_add_f32_e32 v22, v8, v1
	v_fma_f32 v2, v2, 2.0, -v10
	v_fmac_f32_e32 v23, 0x3f3504f3, v13
	v_sub_f32_e32 v27, v9, v0
	v_fma_f32 v0, v8, 2.0, -v22
	v_fmamk_f32 v28, v7, 0x3f3504f3, v17
	v_mul_f32_e32 v8, v3, v15
	v_fma_f32 v4, v21, 2.0, -v23
	v_fma_f32 v1, v9, 2.0, -v27
	v_fmamk_f32 v29, v6, 0x3f3504f3, v20
	v_fmac_f32_e32 v28, 0x3f3504f3, v6
	v_fmac_f32_e32 v8, v2, v25
	v_mul_f32_e32 v2, v2, v15
	v_mul_f32_e32 v6, v5, v48
	v_fmac_f32_e32 v29, 0xbf3504f3, v7
	v_fma_f32 v9, v3, v25, -v2
	v_fmac_f32_e32 v6, v4, v47
	v_mul_f32_e32 v2, v4, v48
	v_mul_f32_e32 v4, v1, v50
	v_fma_f32 v12, v17, 2.0, -v28
	v_fma_f32 v13, v20, 2.0, -v29
	v_fmac_f32_e32 v4, v0, v49
	v_mul_f32_e32 v0, v0, v50
	v_fma_f32 v7, v5, v47, -v2
	v_fma_f32 v5, v1, v49, -v0
	v_mul_f32_e32 v2, v13, v52
	v_mul_f32_e32 v0, v12, v52
	v_fmac_f32_e32 v2, v12, v51
	v_fma_f32 v3, v13, v51, -v0
	v_pk_mul_f32 v[12:13], v[10:11], v[38:39] op_sel_hi:[1,0]
	v_add_u32_e32 v15, v53, v46
	v_pk_fma_f32 v[0:1], v[10:11], v[16:17], v[12:13] op_sel:[0,0,1] op_sel_hi:[1,1,0]
	v_pk_fma_f32 v[10:11], v[10:11], v[16:17], v[12:13] op_sel:[0,0,1] op_sel_hi:[1,0,0] neg_lo:[0,0,1] neg_hi:[0,0,1]
	s_nop 0
	v_mov_b32_e32 v1, v11
	v_lshrrev_b32_e32 v11, 9, v53
	v_lshrrev_b32_e32 v10, 3, v53
	v_and_b32_e32 v11, 0x1f8, v11
	v_and_b32_e32 v10, 0x1f8, v10
	v_add_u32_e32 v12, s8, v11
	v_and_b32_e32 v11, 63, v15
	v_add_u32_e32 v10, s8, v10
	v_lshl_add_u32 v16, v11, 3, 0
	v_lshrrev_b32_e32 v11, 3, v15
	v_and_b32_e32 v13, 0x1f8, v11
	ds_read_b64 v[10:11], v10 offset:512
	v_add_u32_e32 v18, s8, v13
	ds_read_b64 v[12:13], v12 offset:1024
	ds_read_b64 v[16:17], v16 offset:16128
	;; [unrolled: 1-line block ×3, first 2 shown]
	s_waitcnt lgkmcnt(3)
	v_mul_f32_e32 v20, v43, v11
	v_mul_f32_e32 v11, v42, v11
	v_fma_f32 v20, v42, v10, -v20
	v_fmac_f32_e32 v11, v43, v10
	s_waitcnt lgkmcnt(2)
	v_mul_f32_e32 v10, v11, v13
	v_mul_f32_e32 v13, v20, v13
	v_fmac_f32_e32 v13, v12, v11
	v_fma_f32 v21, v12, v20, -v10
	v_mul_f32_e32 v10, v26, v13
	s_waitcnt lgkmcnt(0)
	v_mul_f32_e32 v12, v17, v19
	v_fmac_f32_e32 v10, v23, v21
	v_mul_f32_e32 v11, v23, v13
	v_fma_f32 v23, v16, v18, -v12
	v_lshrrev_b32_e32 v12, 9, v15
	v_add_u32_e32 v13, v15, v46
	v_mul_f32_e32 v25, v16, v19
	v_and_b32_e32 v12, 0x1f8, v12
	v_lshrrev_b32_e32 v16, 3, v13
	v_add_u32_e32 v12, s8, v12
	v_and_b32_e32 v15, 63, v13
	v_and_b32_e32 v16, 0x1f8, v16
	v_lshrrev_b32_e32 v13, 9, v13
	v_fmac_f32_e32 v25, v17, v18
	v_add_u32_e32 v18, s8, v16
	v_and_b32_e32 v16, 0x1f8, v13
	ds_read_b64 v[12:13], v12 offset:1024
	v_lshl_add_u32 v15, v15, 3, 0
	v_add_u32_e32 v20, s8, v16
	v_fma_f32 v11, v26, v21, -v11
	ds_read_b64 v[16:17], v15 offset:16128
	ds_read_b64 v[18:19], v18 offset:512
	;; [unrolled: 1-line block ×3, first 2 shown]
	s_waitcnt lgkmcnt(3)
	v_mul_f32_e32 v15, v25, v13
	v_mul_f32_e32 v13, v23, v13
	v_fmac_f32_e32 v13, v12, v25
	v_fma_f32 v15, v12, v23, -v15
	v_mul_f32_e32 v12, v27, v13
	v_mul_f32_e32 v13, v22, v13
	v_fmac_f32_e32 v12, v22, v15
	v_fma_f32 v13, v27, v15, -v13
	s_waitcnt lgkmcnt(1)
	v_mul_f32_e32 v15, v17, v19
	v_fma_f32 v15, v16, v18, -v15
	v_mul_f32_e32 v16, v16, v19
	v_fmac_f32_e32 v16, v17, v18
	s_waitcnt lgkmcnt(0)
	v_mul_f32_e32 v17, v16, v21
	v_fma_f32 v17, v20, v15, -v17
	v_mul_f32_e32 v15, v15, v21
	v_fmac_f32_e32 v15, v20, v16
	v_mul_f32_e32 v16, v29, v15
	v_mul_f32_e32 v15, v28, v15
	v_fmac_f32_e32 v16, v28, v17
	v_fma_f32 v17, v29, v17, -v15
	v_add_u32_e32 v15, 42, v24
	s_and_saveexec_b64 s[8:9], s[10:11]
	s_cbranch_execz .LBB0_24
; %bb.23:
	v_mad_u64_u32 v[18:19], s[10:11], s14, v14, 0
	v_mov_b32_e32 v20, v19
	v_mad_u64_u32 v[20:21], s[10:11], s15, v14, v[20:21]
	v_mov_b32_e32 v19, v20
	;; [unrolled: 2-line block ×3, first 2 shown]
	v_mad_u64_u32 v[22:23], s[10:11], s13, v24, v[22:23]
	s_lshl_b64 s[10:11], s[6:7], 3
	s_add_u32 s10, s4, s10
	s_addc_u32 s11, s5, s11
	v_mov_b32_e32 v21, v22
	v_lshl_add_u64 v[18:19], v[18:19], 3, s[10:11]
	v_lshl_add_u64 v[20:21], v[20:21], 3, v[18:19]
	global_store_dwordx2 v[20:21], v[8:9], off
	v_mad_u64_u32 v[20:21], s[10:11], s12, v15, 0
	v_mov_b32_e32 v22, v21
	v_mad_u64_u32 v[22:23], s[10:11], s13, v15, v[22:23]
	v_mov_b32_e32 v21, v22
	v_lshl_add_u64 v[20:21], v[20:21], 3, v[18:19]
	v_add_u32_e32 v23, 0x54, v24
	global_store_dwordx2 v[20:21], v[6:7], off
	v_mad_u64_u32 v[20:21], s[10:11], s12, v23, 0
	v_mov_b32_e32 v22, v21
	v_mad_u64_u32 v[22:23], s[10:11], s13, v23, v[22:23]
	v_mov_b32_e32 v21, v22
	v_lshl_add_u64 v[20:21], v[20:21], 3, v[18:19]
	v_add_u32_e32 v23, 0x7e, v24
	;; [unrolled: 7-line block ×6, first 2 shown]
	global_store_dwordx2 v[20:21], v[12:13], off
	v_mad_u64_u32 v[20:21], s[10:11], s12, v23, 0
	v_mov_b32_e32 v22, v21
	v_mad_u64_u32 v[22:23], s[10:11], s13, v23, v[22:23]
	v_mov_b32_e32 v21, v22
	v_lshl_add_u64 v[18:19], v[20:21], 3, v[18:19]
	global_store_dwordx2 v[18:19], v[16:17], off
.LBB0_24:
	s_or_b64 exec, exec, s[8:9]
	s_xor_b64 s[8:9], vcc, -1
	s_and_b64 s[0:1], s[2:3], s[0:1]
	s_and_b64 s[0:1], s[8:9], s[0:1]
	s_and_saveexec_b64 s[2:3], s[0:1]
	s_cbranch_execz .LBB0_26
; %bb.25:
	v_mad_u64_u32 v[18:19], s[0:1], s14, v14, 0
	v_mov_b32_e32 v20, v19
	v_mad_u64_u32 v[20:21], s[0:1], s15, v14, v[20:21]
	v_mov_b32_e32 v19, v20
	;; [unrolled: 2-line block ×3, first 2 shown]
	v_mad_u64_u32 v[22:23], s[0:1], s13, v24, v[14:15]
	s_lshl_b64 s[0:1], s[6:7], 3
	s_add_u32 s0, s4, s0
	s_addc_u32 s1, s5, s1
	v_mov_b32_e32 v21, v22
	v_lshl_add_u64 v[18:19], v[18:19], 3, s[0:1]
	v_lshl_add_u64 v[20:21], v[20:21], 3, v[18:19]
	global_store_dwordx2 v[20:21], v[8:9], off
	v_mad_u64_u32 v[8:9], s[0:1], s12, v15, 0
	v_mov_b32_e32 v14, v9
	v_mad_u64_u32 v[14:15], s[0:1], s13, v15, v[14:15]
	v_mov_b32_e32 v9, v14
	v_lshl_add_u64 v[8:9], v[8:9], 3, v[18:19]
	global_store_dwordx2 v[8:9], v[6:7], off
	v_add_u32_e32 v9, 0x54, v24
	v_mad_u64_u32 v[6:7], s[0:1], s12, v9, 0
	v_mov_b32_e32 v8, v7
	v_mad_u64_u32 v[8:9], s[0:1], s13, v9, v[8:9]
	v_mov_b32_e32 v7, v8
	v_lshl_add_u64 v[6:7], v[6:7], 3, v[18:19]
	global_store_dwordx2 v[6:7], v[4:5], off
	v_add_u32_e32 v7, 0x7e, v24
	;; [unrolled: 7-line block ×4, first 2 shown]
	v_mad_u64_u32 v[0:1], s[0:1], s12, v3, 0
	v_mov_b32_e32 v2, v1
	v_mad_u64_u32 v[2:3], s[0:1], s13, v3, v[2:3]
	v_mov_b32_e32 v1, v2
	v_lshl_add_u64 v[0:1], v[0:1], 3, v[18:19]
	v_add_u32_e32 v3, 0xfc, v24
	global_store_dwordx2 v[0:1], v[10:11], off
	v_mad_u64_u32 v[0:1], s[0:1], s12, v3, 0
	v_mov_b32_e32 v2, v1
	v_mad_u64_u32 v[2:3], s[0:1], s13, v3, v[2:3]
	v_mov_b32_e32 v1, v2
	v_lshl_add_u64 v[0:1], v[0:1], 3, v[18:19]
	v_add_u32_e32 v3, 0x126, v24
	global_store_dwordx2 v[0:1], v[12:13], off
	v_mad_u64_u32 v[0:1], s[0:1], s12, v3, 0
	v_mov_b32_e32 v2, v1
	v_mad_u64_u32 v[2:3], s[0:1], s13, v3, v[2:3]
	v_mov_b32_e32 v1, v2
	v_lshl_add_u64 v[0:1], v[0:1], 3, v[18:19]
	global_store_dwordx2 v[0:1], v[16:17], off
.LBB0_26:
	s_endpgm
	.section	.rodata,"a",@progbits
	.p2align	6, 0x0
	.amdhsa_kernel fft_rtc_back_len336_factors_6_7_8_wgs_336_tpt_56_sp_ip_CI_sbcc_twdbase6_3step_dirReg
		.amdhsa_group_segment_fixed_size 0
		.amdhsa_private_segment_fixed_size 0
		.amdhsa_kernarg_size 96
		.amdhsa_user_sgpr_count 2
		.amdhsa_user_sgpr_dispatch_ptr 0
		.amdhsa_user_sgpr_queue_ptr 0
		.amdhsa_user_sgpr_kernarg_segment_ptr 1
		.amdhsa_user_sgpr_dispatch_id 0
		.amdhsa_user_sgpr_kernarg_preload_length 0
		.amdhsa_user_sgpr_kernarg_preload_offset 0
		.amdhsa_user_sgpr_private_segment_size 0
		.amdhsa_uses_dynamic_stack 0
		.amdhsa_enable_private_segment 0
		.amdhsa_system_sgpr_workgroup_id_x 1
		.amdhsa_system_sgpr_workgroup_id_y 0
		.amdhsa_system_sgpr_workgroup_id_z 0
		.amdhsa_system_sgpr_workgroup_info 0
		.amdhsa_system_vgpr_workitem_id 0
		.amdhsa_next_free_vgpr 56
		.amdhsa_next_free_sgpr 43
		.amdhsa_accum_offset 56
		.amdhsa_reserve_vcc 1
		.amdhsa_float_round_mode_32 0
		.amdhsa_float_round_mode_16_64 0
		.amdhsa_float_denorm_mode_32 3
		.amdhsa_float_denorm_mode_16_64 3
		.amdhsa_dx10_clamp 1
		.amdhsa_ieee_mode 1
		.amdhsa_fp16_overflow 0
		.amdhsa_tg_split 0
		.amdhsa_exception_fp_ieee_invalid_op 0
		.amdhsa_exception_fp_denorm_src 0
		.amdhsa_exception_fp_ieee_div_zero 0
		.amdhsa_exception_fp_ieee_overflow 0
		.amdhsa_exception_fp_ieee_underflow 0
		.amdhsa_exception_fp_ieee_inexact 0
		.amdhsa_exception_int_div_zero 0
	.end_amdhsa_kernel
	.text
.Lfunc_end0:
	.size	fft_rtc_back_len336_factors_6_7_8_wgs_336_tpt_56_sp_ip_CI_sbcc_twdbase6_3step_dirReg, .Lfunc_end0-fft_rtc_back_len336_factors_6_7_8_wgs_336_tpt_56_sp_ip_CI_sbcc_twdbase6_3step_dirReg
                                        ; -- End function
	.section	.AMDGPU.csdata,"",@progbits
; Kernel info:
; codeLenInByte = 6184
; NumSgprs: 49
; NumVgprs: 56
; NumAgprs: 0
; TotalNumVgprs: 56
; ScratchSize: 0
; MemoryBound: 0
; FloatMode: 240
; IeeeMode: 1
; LDSByteSize: 0 bytes/workgroup (compile time only)
; SGPRBlocks: 6
; VGPRBlocks: 6
; NumSGPRsForWavesPerEU: 49
; NumVGPRsForWavesPerEU: 56
; AccumOffset: 56
; Occupancy: 8
; WaveLimiterHint : 1
; COMPUTE_PGM_RSRC2:SCRATCH_EN: 0
; COMPUTE_PGM_RSRC2:USER_SGPR: 2
; COMPUTE_PGM_RSRC2:TRAP_HANDLER: 0
; COMPUTE_PGM_RSRC2:TGID_X_EN: 1
; COMPUTE_PGM_RSRC2:TGID_Y_EN: 0
; COMPUTE_PGM_RSRC2:TGID_Z_EN: 0
; COMPUTE_PGM_RSRC2:TIDIG_COMP_CNT: 0
; COMPUTE_PGM_RSRC3_GFX90A:ACCUM_OFFSET: 13
; COMPUTE_PGM_RSRC3_GFX90A:TG_SPLIT: 0
	.text
	.p2alignl 6, 3212836864
	.fill 256, 4, 3212836864
	.type	__hip_cuid_64cf23b470302326,@object ; @__hip_cuid_64cf23b470302326
	.section	.bss,"aw",@nobits
	.globl	__hip_cuid_64cf23b470302326
__hip_cuid_64cf23b470302326:
	.byte	0                               ; 0x0
	.size	__hip_cuid_64cf23b470302326, 1

	.ident	"AMD clang version 19.0.0git (https://github.com/RadeonOpenCompute/llvm-project roc-6.4.0 25133 c7fe45cf4b819c5991fe208aaa96edf142730f1d)"
	.section	".note.GNU-stack","",@progbits
	.addrsig
	.addrsig_sym __hip_cuid_64cf23b470302326
	.amdgpu_metadata
---
amdhsa.kernels:
  - .agpr_count:     0
    .args:
      - .actual_access:  read_only
        .address_space:  global
        .offset:         0
        .size:           8
        .value_kind:     global_buffer
      - .address_space:  global
        .offset:         8
        .size:           8
        .value_kind:     global_buffer
      - .offset:         16
        .size:           8
        .value_kind:     by_value
      - .actual_access:  read_only
        .address_space:  global
        .offset:         24
        .size:           8
        .value_kind:     global_buffer
      - .actual_access:  read_only
        .address_space:  global
        .offset:         32
        .size:           8
        .value_kind:     global_buffer
      - .offset:         40
        .size:           8
        .value_kind:     by_value
      - .actual_access:  read_only
        .address_space:  global
        .offset:         48
        .size:           8
        .value_kind:     global_buffer
      - .actual_access:  read_only
        .address_space:  global
        .offset:         56
        .size:           8
        .value_kind:     global_buffer
      - .offset:         64
        .size:           4
        .value_kind:     by_value
      - .actual_access:  read_only
        .address_space:  global
        .offset:         72
        .size:           8
        .value_kind:     global_buffer
      - .actual_access:  read_only
        .address_space:  global
        .offset:         80
        .size:           8
        .value_kind:     global_buffer
      - .address_space:  global
        .offset:         88
        .size:           8
        .value_kind:     global_buffer
    .group_segment_fixed_size: 0
    .kernarg_segment_align: 8
    .kernarg_segment_size: 96
    .language:       OpenCL C
    .language_version:
      - 2
      - 0
    .max_flat_workgroup_size: 336
    .name:           fft_rtc_back_len336_factors_6_7_8_wgs_336_tpt_56_sp_ip_CI_sbcc_twdbase6_3step_dirReg
    .private_segment_fixed_size: 0
    .sgpr_count:     49
    .sgpr_spill_count: 0
    .symbol:         fft_rtc_back_len336_factors_6_7_8_wgs_336_tpt_56_sp_ip_CI_sbcc_twdbase6_3step_dirReg.kd
    .uniform_work_group_size: 1
    .uses_dynamic_stack: false
    .vgpr_count:     56
    .vgpr_spill_count: 0
    .wavefront_size: 64
amdhsa.target:   amdgcn-amd-amdhsa--gfx950
amdhsa.version:
  - 1
  - 2
...

	.end_amdgpu_metadata
